;; amdgpu-corpus repo=llvm/llvm-project kind=harvested arch=n/a opt=n/a
// NOTE: Assertions have been autogenerated by utils/update_mc_test_checks.py UTC_ARGS: --unique --sort --version 6
// RUN: llvm-mc -triple=amdgcn -mcpu=gfx1100 -mattr=-real-true16,+wavefrontsize32 -show-encoding %s | FileCheck --check-prefixes=GFX11 %s
// RUN: llvm-mc -triple=amdgcn -mcpu=gfx1100 -mattr=-real-true16,+wavefrontsize64 -show-encoding %s | FileCheck --check-prefixes=GFX11 %s

v_ceil_f16 v127, -|v127| row_xmask:15 row_mask:0x3 bank_mask:0x0 bound_ctrl:0 fi:1
// GFX11: v_ceil_f16_dpp v127, -|v127| row_xmask:15 row_mask:0x3 bank_mask:0x0 fi:1 ; encoding: [0xfa,0xb8,0xfe,0x7e,0x7f,0x6f,0x35,0x30]

v_ceil_f16 v5, v1 quad_perm:[0,1,2,3]
// GFX11: v_ceil_f16_dpp v5, v1 quad_perm:[0,1,2,3] row_mask:0xf bank_mask:0xf ; encoding: [0xfa,0xb8,0x0a,0x7e,0x01,0xe4,0x00,0xff]

v_ceil_f16 v5, v1 quad_perm:[3,2,1,0]
// GFX11: v_ceil_f16_dpp v5, v1 quad_perm:[3,2,1,0] row_mask:0xf bank_mask:0xf ; encoding: [0xfa,0xb8,0x0a,0x7e,0x01,0x1b,0x00,0xff]

v_ceil_f16 v5, v1 row_half_mirror
// GFX11: v_ceil_f16_dpp v5, v1 row_half_mirror row_mask:0xf bank_mask:0xf ; encoding: [0xfa,0xb8,0x0a,0x7e,0x01,0x41,0x01,0xff]

v_ceil_f16 v5, v1 row_mirror
// GFX11: v_ceil_f16_dpp v5, v1 row_mirror row_mask:0xf bank_mask:0xf ; encoding: [0xfa,0xb8,0x0a,0x7e,0x01,0x40,0x01,0xff]

v_ceil_f16 v5, v1 row_ror:1
// GFX11: v_ceil_f16_dpp v5, v1 row_ror:1 row_mask:0xf bank_mask:0xf ; encoding: [0xfa,0xb8,0x0a,0x7e,0x01,0x21,0x01,0xff]

v_ceil_f16 v5, v1 row_ror:15
// GFX11: v_ceil_f16_dpp v5, v1 row_ror:15 row_mask:0xf bank_mask:0xf ; encoding: [0xfa,0xb8,0x0a,0x7e,0x01,0x2f,0x01,0xff]

v_ceil_f16 v5, v1 row_share:0 row_mask:0xf bank_mask:0xf
// GFX11: v_ceil_f16_dpp v5, v1 row_share:0 row_mask:0xf bank_mask:0xf ; encoding: [0xfa,0xb8,0x0a,0x7e,0x01,0x50,0x01,0xff]

v_ceil_f16 v5, v1 row_share:15 row_mask:0x0 bank_mask:0x1
// GFX11: v_ceil_f16_dpp v5, v1 row_share:15 row_mask:0x0 bank_mask:0x1 ; encoding: [0xfa,0xb8,0x0a,0x7e,0x01,0x5f,0x01,0x01]

v_ceil_f16 v5, v1 row_shl:1
// GFX11: v_ceil_f16_dpp v5, v1 row_shl:1 row_mask:0xf bank_mask:0xf ; encoding: [0xfa,0xb8,0x0a,0x7e,0x01,0x01,0x01,0xff]

v_ceil_f16 v5, v1 row_shl:15
// GFX11: v_ceil_f16_dpp v5, v1 row_shl:15 row_mask:0xf bank_mask:0xf ; encoding: [0xfa,0xb8,0x0a,0x7e,0x01,0x0f,0x01,0xff]

v_ceil_f16 v5, v1 row_shr:1
// GFX11: v_ceil_f16_dpp v5, v1 row_shr:1 row_mask:0xf bank_mask:0xf ; encoding: [0xfa,0xb8,0x0a,0x7e,0x01,0x11,0x01,0xff]

v_ceil_f16 v5, v1 row_shr:15
// GFX11: v_ceil_f16_dpp v5, v1 row_shr:15 row_mask:0xf bank_mask:0xf ; encoding: [0xfa,0xb8,0x0a,0x7e,0x01,0x1f,0x01,0xff]

v_ceil_f16 v5, v1 row_xmask:0 row_mask:0x1 bank_mask:0x3 bound_ctrl:1 fi:0
// GFX11: v_ceil_f16_dpp v5, v1 row_xmask:0 row_mask:0x1 bank_mask:0x3 bound_ctrl:1 ; encoding: [0xfa,0xb8,0x0a,0x7e,0x01,0x60,0x09,0x13]

v_exp_f16 v127, -|v127| row_xmask:15 row_mask:0x3 bank_mask:0x0 bound_ctrl:0 fi:1
// GFX11: v_exp_f16_dpp v127, -|v127| row_xmask:15 row_mask:0x3 bank_mask:0x0 fi:1 ; encoding: [0xfa,0xb0,0xfe,0x7e,0x7f,0x6f,0x35,0x30]

v_exp_f16 v5, v1 quad_perm:[0,1,2,3]
// GFX11: v_exp_f16_dpp v5, v1 quad_perm:[0,1,2,3] row_mask:0xf bank_mask:0xf ; encoding: [0xfa,0xb0,0x0a,0x7e,0x01,0xe4,0x00,0xff]

v_exp_f16 v5, v1 quad_perm:[3,2,1,0]
// GFX11: v_exp_f16_dpp v5, v1 quad_perm:[3,2,1,0] row_mask:0xf bank_mask:0xf ; encoding: [0xfa,0xb0,0x0a,0x7e,0x01,0x1b,0x00,0xff]

v_exp_f16 v5, v1 row_half_mirror
// GFX11: v_exp_f16_dpp v5, v1 row_half_mirror row_mask:0xf bank_mask:0xf ; encoding: [0xfa,0xb0,0x0a,0x7e,0x01,0x41,0x01,0xff]

v_exp_f16 v5, v1 row_mirror
// GFX11: v_exp_f16_dpp v5, v1 row_mirror row_mask:0xf bank_mask:0xf ; encoding: [0xfa,0xb0,0x0a,0x7e,0x01,0x40,0x01,0xff]

v_exp_f16 v5, v1 row_ror:1
// GFX11: v_exp_f16_dpp v5, v1 row_ror:1 row_mask:0xf bank_mask:0xf ; encoding: [0xfa,0xb0,0x0a,0x7e,0x01,0x21,0x01,0xff]

v_exp_f16 v5, v1 row_ror:15
// GFX11: v_exp_f16_dpp v5, v1 row_ror:15 row_mask:0xf bank_mask:0xf ; encoding: [0xfa,0xb0,0x0a,0x7e,0x01,0x2f,0x01,0xff]

v_exp_f16 v5, v1 row_share:0 row_mask:0xf bank_mask:0xf
// GFX11: v_exp_f16_dpp v5, v1 row_share:0 row_mask:0xf bank_mask:0xf ; encoding: [0xfa,0xb0,0x0a,0x7e,0x01,0x50,0x01,0xff]

v_exp_f16 v5, v1 row_share:15 row_mask:0x0 bank_mask:0x1
// GFX11: v_exp_f16_dpp v5, v1 row_share:15 row_mask:0x0 bank_mask:0x1 ; encoding: [0xfa,0xb0,0x0a,0x7e,0x01,0x5f,0x01,0x01]

v_exp_f16 v5, v1 row_shl:1
// GFX11: v_exp_f16_dpp v5, v1 row_shl:1 row_mask:0xf bank_mask:0xf ; encoding: [0xfa,0xb0,0x0a,0x7e,0x01,0x01,0x01,0xff]

v_exp_f16 v5, v1 row_shl:15
// GFX11: v_exp_f16_dpp v5, v1 row_shl:15 row_mask:0xf bank_mask:0xf ; encoding: [0xfa,0xb0,0x0a,0x7e,0x01,0x0f,0x01,0xff]

v_exp_f16 v5, v1 row_shr:1
// GFX11: v_exp_f16_dpp v5, v1 row_shr:1 row_mask:0xf bank_mask:0xf ; encoding: [0xfa,0xb0,0x0a,0x7e,0x01,0x11,0x01,0xff]

v_exp_f16 v5, v1 row_shr:15
// GFX11: v_exp_f16_dpp v5, v1 row_shr:15 row_mask:0xf bank_mask:0xf ; encoding: [0xfa,0xb0,0x0a,0x7e,0x01,0x1f,0x01,0xff]

v_exp_f16 v5, v1 row_xmask:0 row_mask:0x1 bank_mask:0x3 bound_ctrl:1 fi:0
// GFX11: v_exp_f16_dpp v5, v1 row_xmask:0 row_mask:0x1 bank_mask:0x3 bound_ctrl:1 ; encoding: [0xfa,0xb0,0x0a,0x7e,0x01,0x60,0x09,0x13]

v_floor_f16 v127, -|v127| row_xmask:15 row_mask:0x3 bank_mask:0x0 bound_ctrl:0 fi:1
// GFX11: v_floor_f16_dpp v127, -|v127| row_xmask:15 row_mask:0x3 bank_mask:0x0 fi:1 ; encoding: [0xfa,0xb6,0xfe,0x7e,0x7f,0x6f,0x35,0x30]

v_floor_f16 v5, v1 quad_perm:[0,1,2,3]
// GFX11: v_floor_f16_dpp v5, v1 quad_perm:[0,1,2,3] row_mask:0xf bank_mask:0xf ; encoding: [0xfa,0xb6,0x0a,0x7e,0x01,0xe4,0x00,0xff]

v_floor_f16 v5, v1 quad_perm:[3,2,1,0]
// GFX11: v_floor_f16_dpp v5, v1 quad_perm:[3,2,1,0] row_mask:0xf bank_mask:0xf ; encoding: [0xfa,0xb6,0x0a,0x7e,0x01,0x1b,0x00,0xff]

v_floor_f16 v5, v1 row_half_mirror
// GFX11: v_floor_f16_dpp v5, v1 row_half_mirror row_mask:0xf bank_mask:0xf ; encoding: [0xfa,0xb6,0x0a,0x7e,0x01,0x41,0x01,0xff]

v_floor_f16 v5, v1 row_mirror
// GFX11: v_floor_f16_dpp v5, v1 row_mirror row_mask:0xf bank_mask:0xf ; encoding: [0xfa,0xb6,0x0a,0x7e,0x01,0x40,0x01,0xff]

v_floor_f16 v5, v1 row_ror:1
// GFX11: v_floor_f16_dpp v5, v1 row_ror:1 row_mask:0xf bank_mask:0xf ; encoding: [0xfa,0xb6,0x0a,0x7e,0x01,0x21,0x01,0xff]

v_floor_f16 v5, v1 row_ror:15
// GFX11: v_floor_f16_dpp v5, v1 row_ror:15 row_mask:0xf bank_mask:0xf ; encoding: [0xfa,0xb6,0x0a,0x7e,0x01,0x2f,0x01,0xff]

v_floor_f16 v5, v1 row_share:0 row_mask:0xf bank_mask:0xf
// GFX11: v_floor_f16_dpp v5, v1 row_share:0 row_mask:0xf bank_mask:0xf ; encoding: [0xfa,0xb6,0x0a,0x7e,0x01,0x50,0x01,0xff]

v_floor_f16 v5, v1 row_share:15 row_mask:0x0 bank_mask:0x1
// GFX11: v_floor_f16_dpp v5, v1 row_share:15 row_mask:0x0 bank_mask:0x1 ; encoding: [0xfa,0xb6,0x0a,0x7e,0x01,0x5f,0x01,0x01]

v_floor_f16 v5, v1 row_shl:1
// GFX11: v_floor_f16_dpp v5, v1 row_shl:1 row_mask:0xf bank_mask:0xf ; encoding: [0xfa,0xb6,0x0a,0x7e,0x01,0x01,0x01,0xff]

v_floor_f16 v5, v1 row_shl:15
// GFX11: v_floor_f16_dpp v5, v1 row_shl:15 row_mask:0xf bank_mask:0xf ; encoding: [0xfa,0xb6,0x0a,0x7e,0x01,0x0f,0x01,0xff]

v_floor_f16 v5, v1 row_shr:1
// GFX11: v_floor_f16_dpp v5, v1 row_shr:1 row_mask:0xf bank_mask:0xf ; encoding: [0xfa,0xb6,0x0a,0x7e,0x01,0x11,0x01,0xff]

v_floor_f16 v5, v1 row_shr:15
// GFX11: v_floor_f16_dpp v5, v1 row_shr:15 row_mask:0xf bank_mask:0xf ; encoding: [0xfa,0xb6,0x0a,0x7e,0x01,0x1f,0x01,0xff]

v_floor_f16 v5, v1 row_xmask:0 row_mask:0x1 bank_mask:0x3 bound_ctrl:1 fi:0
// GFX11: v_floor_f16_dpp v5, v1 row_xmask:0 row_mask:0x1 bank_mask:0x3 bound_ctrl:1 ; encoding: [0xfa,0xb6,0x0a,0x7e,0x01,0x60,0x09,0x13]

v_log_f16 v127, -|v127| row_xmask:15 row_mask:0x3 bank_mask:0x0 bound_ctrl:0 fi:1
// GFX11: v_log_f16_dpp v127, -|v127| row_xmask:15 row_mask:0x3 bank_mask:0x0 fi:1 ; encoding: [0xfa,0xae,0xfe,0x7e,0x7f,0x6f,0x35,0x30]

v_log_f16 v5, v1 quad_perm:[0,1,2,3]
// GFX11: v_log_f16_dpp v5, v1 quad_perm:[0,1,2,3] row_mask:0xf bank_mask:0xf ; encoding: [0xfa,0xae,0x0a,0x7e,0x01,0xe4,0x00,0xff]

v_log_f16 v5, v1 quad_perm:[3,2,1,0]
// GFX11: v_log_f16_dpp v5, v1 quad_perm:[3,2,1,0] row_mask:0xf bank_mask:0xf ; encoding: [0xfa,0xae,0x0a,0x7e,0x01,0x1b,0x00,0xff]

v_log_f16 v5, v1 row_half_mirror
// GFX11: v_log_f16_dpp v5, v1 row_half_mirror row_mask:0xf bank_mask:0xf ; encoding: [0xfa,0xae,0x0a,0x7e,0x01,0x41,0x01,0xff]

v_log_f16 v5, v1 row_mirror
// GFX11: v_log_f16_dpp v5, v1 row_mirror row_mask:0xf bank_mask:0xf ; encoding: [0xfa,0xae,0x0a,0x7e,0x01,0x40,0x01,0xff]

v_log_f16 v5, v1 row_ror:1
// GFX11: v_log_f16_dpp v5, v1 row_ror:1 row_mask:0xf bank_mask:0xf ; encoding: [0xfa,0xae,0x0a,0x7e,0x01,0x21,0x01,0xff]

v_log_f16 v5, v1 row_ror:15
// GFX11: v_log_f16_dpp v5, v1 row_ror:15 row_mask:0xf bank_mask:0xf ; encoding: [0xfa,0xae,0x0a,0x7e,0x01,0x2f,0x01,0xff]

v_log_f16 v5, v1 row_share:0 row_mask:0xf bank_mask:0xf
// GFX11: v_log_f16_dpp v5, v1 row_share:0 row_mask:0xf bank_mask:0xf ; encoding: [0xfa,0xae,0x0a,0x7e,0x01,0x50,0x01,0xff]

v_log_f16 v5, v1 row_share:15 row_mask:0x0 bank_mask:0x1
// GFX11: v_log_f16_dpp v5, v1 row_share:15 row_mask:0x0 bank_mask:0x1 ; encoding: [0xfa,0xae,0x0a,0x7e,0x01,0x5f,0x01,0x01]

v_log_f16 v5, v1 row_shl:1
// GFX11: v_log_f16_dpp v5, v1 row_shl:1 row_mask:0xf bank_mask:0xf ; encoding: [0xfa,0xae,0x0a,0x7e,0x01,0x01,0x01,0xff]

v_log_f16 v5, v1 row_shl:15
// GFX11: v_log_f16_dpp v5, v1 row_shl:15 row_mask:0xf bank_mask:0xf ; encoding: [0xfa,0xae,0x0a,0x7e,0x01,0x0f,0x01,0xff]

v_log_f16 v5, v1 row_shr:1
// GFX11: v_log_f16_dpp v5, v1 row_shr:1 row_mask:0xf bank_mask:0xf ; encoding: [0xfa,0xae,0x0a,0x7e,0x01,0x11,0x01,0xff]

v_log_f16 v5, v1 row_shr:15
// GFX11: v_log_f16_dpp v5, v1 row_shr:15 row_mask:0xf bank_mask:0xf ; encoding: [0xfa,0xae,0x0a,0x7e,0x01,0x1f,0x01,0xff]

v_log_f16 v5, v1 row_xmask:0 row_mask:0x1 bank_mask:0x3 bound_ctrl:1 fi:0
// GFX11: v_log_f16_dpp v5, v1 row_xmask:0 row_mask:0x1 bank_mask:0x3 bound_ctrl:1 ; encoding: [0xfa,0xae,0x0a,0x7e,0x01,0x60,0x09,0x13]

v_rcp_f16 v127, -|v127| row_xmask:15 row_mask:0x3 bank_mask:0x0 bound_ctrl:0 fi:1
// GFX11: v_rcp_f16_dpp v127, -|v127| row_xmask:15 row_mask:0x3 bank_mask:0x0 fi:1 ; encoding: [0xfa,0xa8,0xfe,0x7e,0x7f,0x6f,0x35,0x30]

v_rcp_f16 v5, v1 quad_perm:[0,1,2,3]
// GFX11: v_rcp_f16_dpp v5, v1 quad_perm:[0,1,2,3] row_mask:0xf bank_mask:0xf ; encoding: [0xfa,0xa8,0x0a,0x7e,0x01,0xe4,0x00,0xff]

v_rcp_f16 v5, v1 quad_perm:[3,2,1,0]
// GFX11: v_rcp_f16_dpp v5, v1 quad_perm:[3,2,1,0] row_mask:0xf bank_mask:0xf ; encoding: [0xfa,0xa8,0x0a,0x7e,0x01,0x1b,0x00,0xff]

v_rcp_f16 v5, v1 row_half_mirror
// GFX11: v_rcp_f16_dpp v5, v1 row_half_mirror row_mask:0xf bank_mask:0xf ; encoding: [0xfa,0xa8,0x0a,0x7e,0x01,0x41,0x01,0xff]

v_rcp_f16 v5, v1 row_mirror
// GFX11: v_rcp_f16_dpp v5, v1 row_mirror row_mask:0xf bank_mask:0xf ; encoding: [0xfa,0xa8,0x0a,0x7e,0x01,0x40,0x01,0xff]

v_rcp_f16 v5, v1 row_ror:1
// GFX11: v_rcp_f16_dpp v5, v1 row_ror:1 row_mask:0xf bank_mask:0xf ; encoding: [0xfa,0xa8,0x0a,0x7e,0x01,0x21,0x01,0xff]

v_rcp_f16 v5, v1 row_ror:15
// GFX11: v_rcp_f16_dpp v5, v1 row_ror:15 row_mask:0xf bank_mask:0xf ; encoding: [0xfa,0xa8,0x0a,0x7e,0x01,0x2f,0x01,0xff]

v_rcp_f16 v5, v1 row_share:0 row_mask:0xf bank_mask:0xf
// GFX11: v_rcp_f16_dpp v5, v1 row_share:0 row_mask:0xf bank_mask:0xf ; encoding: [0xfa,0xa8,0x0a,0x7e,0x01,0x50,0x01,0xff]

v_rcp_f16 v5, v1 row_share:15 row_mask:0x0 bank_mask:0x1
// GFX11: v_rcp_f16_dpp v5, v1 row_share:15 row_mask:0x0 bank_mask:0x1 ; encoding: [0xfa,0xa8,0x0a,0x7e,0x01,0x5f,0x01,0x01]

v_rcp_f16 v5, v1 row_shl:1
// GFX11: v_rcp_f16_dpp v5, v1 row_shl:1 row_mask:0xf bank_mask:0xf ; encoding: [0xfa,0xa8,0x0a,0x7e,0x01,0x01,0x01,0xff]

v_rcp_f16 v5, v1 row_shl:15
// GFX11: v_rcp_f16_dpp v5, v1 row_shl:15 row_mask:0xf bank_mask:0xf ; encoding: [0xfa,0xa8,0x0a,0x7e,0x01,0x0f,0x01,0xff]

v_rcp_f16 v5, v1 row_shr:1
// GFX11: v_rcp_f16_dpp v5, v1 row_shr:1 row_mask:0xf bank_mask:0xf ; encoding: [0xfa,0xa8,0x0a,0x7e,0x01,0x11,0x01,0xff]

v_rcp_f16 v5, v1 row_shr:15
// GFX11: v_rcp_f16_dpp v5, v1 row_shr:15 row_mask:0xf bank_mask:0xf ; encoding: [0xfa,0xa8,0x0a,0x7e,0x01,0x1f,0x01,0xff]

v_rcp_f16 v5, v1 row_xmask:0 row_mask:0x1 bank_mask:0x3 bound_ctrl:1 fi:0
// GFX11: v_rcp_f16_dpp v5, v1 row_xmask:0 row_mask:0x1 bank_mask:0x3 bound_ctrl:1 ; encoding: [0xfa,0xa8,0x0a,0x7e,0x01,0x60,0x09,0x13]

v_rsq_f16 v127, -|v127| row_xmask:15 row_mask:0x3 bank_mask:0x0 bound_ctrl:0 fi:1
// GFX11: v_rsq_f16_dpp v127, -|v127| row_xmask:15 row_mask:0x3 bank_mask:0x0 fi:1 ; encoding: [0xfa,0xac,0xfe,0x7e,0x7f,0x6f,0x35,0x30]

v_rsq_f16 v5, v1 quad_perm:[0,1,2,3]
// GFX11: v_rsq_f16_dpp v5, v1 quad_perm:[0,1,2,3] row_mask:0xf bank_mask:0xf ; encoding: [0xfa,0xac,0x0a,0x7e,0x01,0xe4,0x00,0xff]

v_rsq_f16 v5, v1 quad_perm:[3,2,1,0]
// GFX11: v_rsq_f16_dpp v5, v1 quad_perm:[3,2,1,0] row_mask:0xf bank_mask:0xf ; encoding: [0xfa,0xac,0x0a,0x7e,0x01,0x1b,0x00,0xff]

v_rsq_f16 v5, v1 row_half_mirror
// GFX11: v_rsq_f16_dpp v5, v1 row_half_mirror row_mask:0xf bank_mask:0xf ; encoding: [0xfa,0xac,0x0a,0x7e,0x01,0x41,0x01,0xff]

v_rsq_f16 v5, v1 row_mirror
// GFX11: v_rsq_f16_dpp v5, v1 row_mirror row_mask:0xf bank_mask:0xf ; encoding: [0xfa,0xac,0x0a,0x7e,0x01,0x40,0x01,0xff]

v_rsq_f16 v5, v1 row_ror:1
// GFX11: v_rsq_f16_dpp v5, v1 row_ror:1 row_mask:0xf bank_mask:0xf ; encoding: [0xfa,0xac,0x0a,0x7e,0x01,0x21,0x01,0xff]

v_rsq_f16 v5, v1 row_ror:15
// GFX11: v_rsq_f16_dpp v5, v1 row_ror:15 row_mask:0xf bank_mask:0xf ; encoding: [0xfa,0xac,0x0a,0x7e,0x01,0x2f,0x01,0xff]

v_rsq_f16 v5, v1 row_share:0 row_mask:0xf bank_mask:0xf
// GFX11: v_rsq_f16_dpp v5, v1 row_share:0 row_mask:0xf bank_mask:0xf ; encoding: [0xfa,0xac,0x0a,0x7e,0x01,0x50,0x01,0xff]

v_rsq_f16 v5, v1 row_share:15 row_mask:0x0 bank_mask:0x1
// GFX11: v_rsq_f16_dpp v5, v1 row_share:15 row_mask:0x0 bank_mask:0x1 ; encoding: [0xfa,0xac,0x0a,0x7e,0x01,0x5f,0x01,0x01]

v_rsq_f16 v5, v1 row_shl:1
// GFX11: v_rsq_f16_dpp v5, v1 row_shl:1 row_mask:0xf bank_mask:0xf ; encoding: [0xfa,0xac,0x0a,0x7e,0x01,0x01,0x01,0xff]

v_rsq_f16 v5, v1 row_shl:15
// GFX11: v_rsq_f16_dpp v5, v1 row_shl:15 row_mask:0xf bank_mask:0xf ; encoding: [0xfa,0xac,0x0a,0x7e,0x01,0x0f,0x01,0xff]

v_rsq_f16 v5, v1 row_shr:1
// GFX11: v_rsq_f16_dpp v5, v1 row_shr:1 row_mask:0xf bank_mask:0xf ; encoding: [0xfa,0xac,0x0a,0x7e,0x01,0x11,0x01,0xff]

v_rsq_f16 v5, v1 row_shr:15
// GFX11: v_rsq_f16_dpp v5, v1 row_shr:15 row_mask:0xf bank_mask:0xf ; encoding: [0xfa,0xac,0x0a,0x7e,0x01,0x1f,0x01,0xff]

v_rsq_f16 v5, v1 row_xmask:0 row_mask:0x1 bank_mask:0x3 bound_ctrl:1 fi:0
// GFX11: v_rsq_f16_dpp v5, v1 row_xmask:0 row_mask:0x1 bank_mask:0x3 bound_ctrl:1 ; encoding: [0xfa,0xac,0x0a,0x7e,0x01,0x60,0x09,0x13]

v_sqrt_f16 v127, -|v127| row_xmask:15 row_mask:0x3 bank_mask:0x0 bound_ctrl:0 fi:1
// GFX11: v_sqrt_f16_dpp v127, -|v127| row_xmask:15 row_mask:0x3 bank_mask:0x0 fi:1 ; encoding: [0xfa,0xaa,0xfe,0x7e,0x7f,0x6f,0x35,0x30]

v_sqrt_f16 v5, v1 quad_perm:[0,1,2,3]
// GFX11: v_sqrt_f16_dpp v5, v1 quad_perm:[0,1,2,3] row_mask:0xf bank_mask:0xf ; encoding: [0xfa,0xaa,0x0a,0x7e,0x01,0xe4,0x00,0xff]

v_sqrt_f16 v5, v1 quad_perm:[3,2,1,0]
// GFX11: v_sqrt_f16_dpp v5, v1 quad_perm:[3,2,1,0] row_mask:0xf bank_mask:0xf ; encoding: [0xfa,0xaa,0x0a,0x7e,0x01,0x1b,0x00,0xff]

v_sqrt_f16 v5, v1 row_half_mirror
// GFX11: v_sqrt_f16_dpp v5, v1 row_half_mirror row_mask:0xf bank_mask:0xf ; encoding: [0xfa,0xaa,0x0a,0x7e,0x01,0x41,0x01,0xff]

v_sqrt_f16 v5, v1 row_mirror
// GFX11: v_sqrt_f16_dpp v5, v1 row_mirror row_mask:0xf bank_mask:0xf ; encoding: [0xfa,0xaa,0x0a,0x7e,0x01,0x40,0x01,0xff]

v_sqrt_f16 v5, v1 row_ror:1
// GFX11: v_sqrt_f16_dpp v5, v1 row_ror:1 row_mask:0xf bank_mask:0xf ; encoding: [0xfa,0xaa,0x0a,0x7e,0x01,0x21,0x01,0xff]

v_sqrt_f16 v5, v1 row_ror:15
// GFX11: v_sqrt_f16_dpp v5, v1 row_ror:15 row_mask:0xf bank_mask:0xf ; encoding: [0xfa,0xaa,0x0a,0x7e,0x01,0x2f,0x01,0xff]

v_sqrt_f16 v5, v1 row_share:0 row_mask:0xf bank_mask:0xf
// GFX11: v_sqrt_f16_dpp v5, v1 row_share:0 row_mask:0xf bank_mask:0xf ; encoding: [0xfa,0xaa,0x0a,0x7e,0x01,0x50,0x01,0xff]

v_sqrt_f16 v5, v1 row_share:15 row_mask:0x0 bank_mask:0x1
// GFX11: v_sqrt_f16_dpp v5, v1 row_share:15 row_mask:0x0 bank_mask:0x1 ; encoding: [0xfa,0xaa,0x0a,0x7e,0x01,0x5f,0x01,0x01]

v_sqrt_f16 v5, v1 row_shl:1
// GFX11: v_sqrt_f16_dpp v5, v1 row_shl:1 row_mask:0xf bank_mask:0xf ; encoding: [0xfa,0xaa,0x0a,0x7e,0x01,0x01,0x01,0xff]

v_sqrt_f16 v5, v1 row_shl:15
// GFX11: v_sqrt_f16_dpp v5, v1 row_shl:15 row_mask:0xf bank_mask:0xf ; encoding: [0xfa,0xaa,0x0a,0x7e,0x01,0x0f,0x01,0xff]

v_sqrt_f16 v5, v1 row_shr:1
// GFX11: v_sqrt_f16_dpp v5, v1 row_shr:1 row_mask:0xf bank_mask:0xf ; encoding: [0xfa,0xaa,0x0a,0x7e,0x01,0x11,0x01,0xff]

v_sqrt_f16 v5, v1 row_shr:15
// GFX11: v_sqrt_f16_dpp v5, v1 row_shr:15 row_mask:0xf bank_mask:0xf ; encoding: [0xfa,0xaa,0x0a,0x7e,0x01,0x1f,0x01,0xff]

v_sqrt_f16 v5, v1 row_xmask:0 row_mask:0x1 bank_mask:0x3 bound_ctrl:1 fi:0
// GFX11: v_sqrt_f16_dpp v5, v1 row_xmask:0 row_mask:0x1 bank_mask:0x3 bound_ctrl:1 ; encoding: [0xfa,0xaa,0x0a,0x7e,0x01,0x60,0x09,0x13]
